;; amdgpu-corpus repo=ROCm/rocFFT kind=compiled arch=gfx1030 opt=O3
	.text
	.amdgcn_target "amdgcn-amd-amdhsa--gfx1030"
	.amdhsa_code_object_version 6
	.protected	fft_rtc_back_len1620_factors_10_3_3_6_3_wgs_162_tpt_162_halfLds_sp_op_CI_CI_unitstride_sbrr_R2C_dirReg ; -- Begin function fft_rtc_back_len1620_factors_10_3_3_6_3_wgs_162_tpt_162_halfLds_sp_op_CI_CI_unitstride_sbrr_R2C_dirReg
	.globl	fft_rtc_back_len1620_factors_10_3_3_6_3_wgs_162_tpt_162_halfLds_sp_op_CI_CI_unitstride_sbrr_R2C_dirReg
	.p2align	8
	.type	fft_rtc_back_len1620_factors_10_3_3_6_3_wgs_162_tpt_162_halfLds_sp_op_CI_CI_unitstride_sbrr_R2C_dirReg,@function
fft_rtc_back_len1620_factors_10_3_3_6_3_wgs_162_tpt_162_halfLds_sp_op_CI_CI_unitstride_sbrr_R2C_dirReg: ; @fft_rtc_back_len1620_factors_10_3_3_6_3_wgs_162_tpt_162_halfLds_sp_op_CI_CI_unitstride_sbrr_R2C_dirReg
; %bb.0:
	s_clause 0x2
	s_load_dwordx4 s[12:15], s[4:5], 0x0
	s_load_dwordx4 s[8:11], s[4:5], 0x58
	;; [unrolled: 1-line block ×3, first 2 shown]
	v_mul_u32_u24_e32 v1, 0x195, v0
	v_mov_b32_e32 v3, 0
	v_add_nc_u32_sdwa v5, s6, v1 dst_sel:DWORD dst_unused:UNUSED_PAD src0_sel:DWORD src1_sel:WORD_1
	v_mov_b32_e32 v1, 0
	v_mov_b32_e32 v6, v3
	v_mov_b32_e32 v2, 0
	s_waitcnt lgkmcnt(0)
	v_cmp_lt_u64_e64 s0, s[14:15], 2
	s_and_b32 vcc_lo, exec_lo, s0
	s_cbranch_vccnz .LBB0_8
; %bb.1:
	s_load_dwordx2 s[0:1], s[4:5], 0x10
	v_mov_b32_e32 v1, 0
	v_mov_b32_e32 v2, 0
	s_add_u32 s2, s18, 8
	s_addc_u32 s3, s19, 0
	s_add_u32 s6, s16, 8
	s_addc_u32 s7, s17, 0
	v_mov_b32_e32 v13, v2
	v_mov_b32_e32 v12, v1
	s_mov_b64 s[22:23], 1
	s_waitcnt lgkmcnt(0)
	s_add_u32 s20, s0, 8
	s_addc_u32 s21, s1, 0
.LBB0_2:                                ; =>This Inner Loop Header: Depth=1
	s_load_dwordx2 s[24:25], s[20:21], 0x0
                                        ; implicit-def: $vgpr16_vgpr17
	s_mov_b32 s0, exec_lo
	s_waitcnt lgkmcnt(0)
	v_or_b32_e32 v4, s25, v6
	v_cmpx_ne_u64_e32 0, v[3:4]
	s_xor_b32 s1, exec_lo, s0
	s_cbranch_execz .LBB0_4
; %bb.3:                                ;   in Loop: Header=BB0_2 Depth=1
	v_cvt_f32_u32_e32 v4, s24
	v_cvt_f32_u32_e32 v7, s25
	s_sub_u32 s0, 0, s24
	s_subb_u32 s26, 0, s25
	v_fmac_f32_e32 v4, 0x4f800000, v7
	v_rcp_f32_e32 v4, v4
	v_mul_f32_e32 v4, 0x5f7ffffc, v4
	v_mul_f32_e32 v7, 0x2f800000, v4
	v_trunc_f32_e32 v7, v7
	v_fmac_f32_e32 v4, 0xcf800000, v7
	v_cvt_u32_f32_e32 v7, v7
	v_cvt_u32_f32_e32 v4, v4
	v_mul_lo_u32 v8, s0, v7
	v_mul_hi_u32 v9, s0, v4
	v_mul_lo_u32 v10, s26, v4
	v_add_nc_u32_e32 v8, v9, v8
	v_mul_lo_u32 v9, s0, v4
	v_add_nc_u32_e32 v8, v8, v10
	v_mul_hi_u32 v10, v4, v9
	v_mul_lo_u32 v11, v4, v8
	v_mul_hi_u32 v14, v4, v8
	v_mul_hi_u32 v15, v7, v9
	v_mul_lo_u32 v9, v7, v9
	v_mul_hi_u32 v16, v7, v8
	v_mul_lo_u32 v8, v7, v8
	v_add_co_u32 v10, vcc_lo, v10, v11
	v_add_co_ci_u32_e32 v11, vcc_lo, 0, v14, vcc_lo
	v_add_co_u32 v9, vcc_lo, v10, v9
	v_add_co_ci_u32_e32 v9, vcc_lo, v11, v15, vcc_lo
	v_add_co_ci_u32_e32 v10, vcc_lo, 0, v16, vcc_lo
	v_add_co_u32 v8, vcc_lo, v9, v8
	v_add_co_ci_u32_e32 v9, vcc_lo, 0, v10, vcc_lo
	v_add_co_u32 v4, vcc_lo, v4, v8
	v_add_co_ci_u32_e32 v7, vcc_lo, v7, v9, vcc_lo
	v_mul_hi_u32 v8, s0, v4
	v_mul_lo_u32 v10, s26, v4
	v_mul_lo_u32 v9, s0, v7
	v_add_nc_u32_e32 v8, v8, v9
	v_mul_lo_u32 v9, s0, v4
	v_add_nc_u32_e32 v8, v8, v10
	v_mul_hi_u32 v10, v4, v9
	v_mul_lo_u32 v11, v4, v8
	v_mul_hi_u32 v14, v4, v8
	v_mul_hi_u32 v15, v7, v9
	v_mul_lo_u32 v9, v7, v9
	v_mul_hi_u32 v16, v7, v8
	v_mul_lo_u32 v8, v7, v8
	v_add_co_u32 v10, vcc_lo, v10, v11
	v_add_co_ci_u32_e32 v11, vcc_lo, 0, v14, vcc_lo
	v_add_co_u32 v9, vcc_lo, v10, v9
	v_add_co_ci_u32_e32 v9, vcc_lo, v11, v15, vcc_lo
	v_add_co_ci_u32_e32 v10, vcc_lo, 0, v16, vcc_lo
	v_add_co_u32 v8, vcc_lo, v9, v8
	v_add_co_ci_u32_e32 v9, vcc_lo, 0, v10, vcc_lo
	v_add_co_u32 v4, vcc_lo, v4, v8
	v_add_co_ci_u32_e32 v11, vcc_lo, v7, v9, vcc_lo
	v_mul_hi_u32 v16, v5, v4
	v_mad_u64_u32 v[9:10], null, v6, v4, 0
	v_mad_u64_u32 v[7:8], null, v5, v11, 0
	;; [unrolled: 1-line block ×3, first 2 shown]
	v_add_co_u32 v4, vcc_lo, v16, v7
	v_add_co_ci_u32_e32 v7, vcc_lo, 0, v8, vcc_lo
	v_add_co_u32 v4, vcc_lo, v4, v9
	v_add_co_ci_u32_e32 v4, vcc_lo, v7, v10, vcc_lo
	v_add_co_ci_u32_e32 v7, vcc_lo, 0, v15, vcc_lo
	v_add_co_u32 v4, vcc_lo, v4, v14
	v_add_co_ci_u32_e32 v9, vcc_lo, 0, v7, vcc_lo
	v_mul_lo_u32 v10, s25, v4
	v_mad_u64_u32 v[7:8], null, s24, v4, 0
	v_mul_lo_u32 v11, s24, v9
	v_sub_co_u32 v7, vcc_lo, v5, v7
	v_add3_u32 v8, v8, v11, v10
	v_sub_nc_u32_e32 v10, v6, v8
	v_subrev_co_ci_u32_e64 v10, s0, s25, v10, vcc_lo
	v_add_co_u32 v11, s0, v4, 2
	v_add_co_ci_u32_e64 v14, s0, 0, v9, s0
	v_sub_co_u32 v15, s0, v7, s24
	v_sub_co_ci_u32_e32 v8, vcc_lo, v6, v8, vcc_lo
	v_subrev_co_ci_u32_e64 v10, s0, 0, v10, s0
	v_cmp_le_u32_e32 vcc_lo, s24, v15
	v_cmp_eq_u32_e64 s0, s25, v8
	v_cndmask_b32_e64 v15, 0, -1, vcc_lo
	v_cmp_le_u32_e32 vcc_lo, s25, v10
	v_cndmask_b32_e64 v16, 0, -1, vcc_lo
	v_cmp_le_u32_e32 vcc_lo, s24, v7
	;; [unrolled: 2-line block ×3, first 2 shown]
	v_cndmask_b32_e64 v17, 0, -1, vcc_lo
	v_cmp_eq_u32_e32 vcc_lo, s25, v10
	v_cndmask_b32_e64 v7, v17, v7, s0
	v_cndmask_b32_e32 v10, v16, v15, vcc_lo
	v_add_co_u32 v15, vcc_lo, v4, 1
	v_add_co_ci_u32_e32 v16, vcc_lo, 0, v9, vcc_lo
	v_cmp_ne_u32_e32 vcc_lo, 0, v10
	v_cndmask_b32_e32 v8, v16, v14, vcc_lo
	v_cndmask_b32_e32 v10, v15, v11, vcc_lo
	v_cmp_ne_u32_e32 vcc_lo, 0, v7
	v_cndmask_b32_e32 v17, v9, v8, vcc_lo
	v_cndmask_b32_e32 v16, v4, v10, vcc_lo
.LBB0_4:                                ;   in Loop: Header=BB0_2 Depth=1
	s_andn2_saveexec_b32 s0, s1
	s_cbranch_execz .LBB0_6
; %bb.5:                                ;   in Loop: Header=BB0_2 Depth=1
	v_cvt_f32_u32_e32 v4, s24
	s_sub_i32 s1, 0, s24
	v_mov_b32_e32 v17, v3
	v_rcp_iflag_f32_e32 v4, v4
	v_mul_f32_e32 v4, 0x4f7ffffe, v4
	v_cvt_u32_f32_e32 v4, v4
	v_mul_lo_u32 v7, s1, v4
	v_mul_hi_u32 v7, v4, v7
	v_add_nc_u32_e32 v4, v4, v7
	v_mul_hi_u32 v4, v5, v4
	v_mul_lo_u32 v7, v4, s24
	v_add_nc_u32_e32 v8, 1, v4
	v_sub_nc_u32_e32 v7, v5, v7
	v_subrev_nc_u32_e32 v9, s24, v7
	v_cmp_le_u32_e32 vcc_lo, s24, v7
	v_cndmask_b32_e32 v7, v7, v9, vcc_lo
	v_cndmask_b32_e32 v4, v4, v8, vcc_lo
	v_cmp_le_u32_e32 vcc_lo, s24, v7
	v_add_nc_u32_e32 v8, 1, v4
	v_cndmask_b32_e32 v16, v4, v8, vcc_lo
.LBB0_6:                                ;   in Loop: Header=BB0_2 Depth=1
	s_or_b32 exec_lo, exec_lo, s0
	v_mul_lo_u32 v4, v17, s24
	v_mul_lo_u32 v9, v16, s25
	s_load_dwordx2 s[0:1], s[6:7], 0x0
	v_mad_u64_u32 v[7:8], null, v16, s24, 0
	s_load_dwordx2 s[24:25], s[2:3], 0x0
	s_add_u32 s22, s22, 1
	s_addc_u32 s23, s23, 0
	s_add_u32 s2, s2, 8
	s_addc_u32 s3, s3, 0
	s_add_u32 s6, s6, 8
	v_add3_u32 v4, v8, v9, v4
	v_sub_co_u32 v5, vcc_lo, v5, v7
	s_addc_u32 s7, s7, 0
	s_add_u32 s20, s20, 8
	v_sub_co_ci_u32_e32 v4, vcc_lo, v6, v4, vcc_lo
	s_addc_u32 s21, s21, 0
	s_waitcnt lgkmcnt(0)
	v_mul_lo_u32 v6, s0, v4
	v_mul_lo_u32 v7, s1, v5
	v_mad_u64_u32 v[1:2], null, s0, v5, v[1:2]
	v_mul_lo_u32 v4, s24, v4
	v_mul_lo_u32 v8, s25, v5
	v_mad_u64_u32 v[12:13], null, s24, v5, v[12:13]
	v_cmp_ge_u64_e64 s0, s[22:23], s[14:15]
	v_add3_u32 v2, v7, v2, v6
	v_add3_u32 v13, v8, v13, v4
	s_and_b32 vcc_lo, exec_lo, s0
	s_cbranch_vccnz .LBB0_9
; %bb.7:                                ;   in Loop: Header=BB0_2 Depth=1
	v_mov_b32_e32 v5, v16
	v_mov_b32_e32 v6, v17
	s_branch .LBB0_2
.LBB0_8:
	v_mov_b32_e32 v13, v2
	v_mov_b32_e32 v17, v6
	;; [unrolled: 1-line block ×4, first 2 shown]
.LBB0_9:
	s_load_dwordx2 s[0:1], s[4:5], 0x28
	v_mul_hi_u32 v3, 0x1948b10, v0
	s_lshl_b64 s[4:5], s[14:15], 3
                                        ; implicit-def: $vgpr14
                                        ; implicit-def: $vgpr18
                                        ; implicit-def: $vgpr21
                                        ; implicit-def: $vgpr20
	s_add_u32 s2, s18, s4
	s_addc_u32 s3, s19, s5
	s_waitcnt lgkmcnt(0)
	v_cmp_gt_u64_e32 vcc_lo, s[0:1], v[16:17]
	v_cmp_le_u64_e64 s0, s[0:1], v[16:17]
	s_and_saveexec_b32 s1, s0
	s_xor_b32 s0, exec_lo, s1
; %bb.10:
	v_mul_u32_u24_e32 v1, 0xa2, v3
                                        ; implicit-def: $vgpr3
	v_sub_nc_u32_e32 v14, v0, v1
                                        ; implicit-def: $vgpr0
                                        ; implicit-def: $vgpr1_vgpr2
	v_add_nc_u32_e32 v18, 0xa2, v14
	v_add_nc_u32_e32 v21, 0x144, v14
	;; [unrolled: 1-line block ×3, first 2 shown]
; %bb.11:
	s_andn2_saveexec_b32 s1, s0
	s_cbranch_execz .LBB0_13
; %bb.12:
	s_add_u32 s4, s16, s4
	s_addc_u32 s5, s17, s5
	v_lshlrev_b64 v[1:2], 3, v[1:2]
	s_load_dwordx2 s[4:5], s[4:5], 0x0
	s_waitcnt lgkmcnt(0)
	v_mul_lo_u32 v6, s5, v16
	v_mul_lo_u32 v7, s4, v17
	v_mad_u64_u32 v[4:5], null, s4, v16, 0
	v_add3_u32 v5, v5, v7, v6
	v_mul_u32_u24_e32 v6, 0xa2, v3
	v_lshlrev_b64 v[3:4], 3, v[4:5]
	v_sub_nc_u32_e32 v14, v0, v6
	v_lshlrev_b32_e32 v15, 3, v14
	v_add_co_u32 v0, s0, s8, v3
	v_add_co_ci_u32_e64 v3, s0, s9, v4, s0
	v_add_nc_u32_e32 v18, 0xa2, v14
	v_add_co_u32 v0, s0, v0, v1
	v_add_co_ci_u32_e64 v1, s0, v3, v2, s0
	v_add_nc_u32_e32 v21, 0x144, v14
	;; [unrolled: 3-line block ×3, first 2 shown]
	v_add_co_u32 v2, s0, 0x800, v0
	v_add_co_ci_u32_e64 v3, s0, 0, v1, s0
	v_add_co_u32 v4, s0, 0x1000, v0
	v_add_co_ci_u32_e64 v5, s0, 0, v1, s0
	;; [unrolled: 2-line block ×5, first 2 shown]
	s_clause 0x9
	global_load_dwordx2 v[22:23], v[0:1], off
	global_load_dwordx2 v[0:1], v[0:1], off offset:1296
	global_load_dwordx2 v[24:25], v[2:3], off offset:544
	;; [unrolled: 1-line block ×9, first 2 shown]
	v_add_nc_u32_e32 v20, 0x1e6, v14
	v_add_nc_u32_e32 v19, 0x800, v15
	;; [unrolled: 1-line block ×5, first 2 shown]
	s_waitcnt vmcnt(8)
	ds_write2_b64 v15, v[22:23], v[0:1] offset1:162
	s_waitcnt vmcnt(6)
	ds_write2_b64 v19, v[24:25], v[2:3] offset0:68 offset1:230
	s_waitcnt vmcnt(4)
	ds_write2_b64 v30, v[4:5], v[26:27] offset0:8 offset1:170
	;; [unrolled: 2-line block ×4, first 2 shown]
.LBB0_13:
	s_or_b32 exec_lo, exec_lo, s1
	v_lshl_add_u32 v36, v14, 3, 0
	s_load_dwordx2 s[4:5], s[2:3], 0x0
	s_waitcnt lgkmcnt(0)
	s_barrier
	buffer_gl0_inv
	v_add_nc_u32_e32 v4, 0x800, v36
	v_add_nc_u32_e32 v8, 0x1400, v36
	;; [unrolled: 1-line block ×4, first 2 shown]
	ds_read2_b64 v[0:3], v36 offset1:162
	ds_read2_b64 v[4:7], v4 offset0:68 offset1:230
	ds_read2_b64 v[8:11], v8 offset0:8 offset1:170
	;; [unrolled: 1-line block ×4, first 2 shown]
	s_waitcnt lgkmcnt(0)
	s_barrier
	buffer_gl0_inv
	v_cmp_gt_u32_e64 s0, 54, v14
	v_add_f32_e32 v15, v0, v4
	v_sub_f32_e32 v32, v4, v8
	v_add_f32_e32 v19, v8, v22
	v_sub_f32_e32 v33, v26, v22
	;; [unrolled: 2-line block ×3, first 2 shown]
	v_sub_f32_e32 v31, v9, v23
	v_sub_f32_e32 v35, v8, v4
	;; [unrolled: 1-line block ×4, first 2 shown]
	v_add_f32_e32 v8, v15, v8
	v_fma_f32 v15, -0.5, v19, v0
	v_add_f32_e32 v19, v32, v33
	v_fma_f32 v32, -0.5, v34, v0
	v_add_f32_e32 v39, v9, v23
	v_add_f32_e32 v0, v35, v37
	;; [unrolled: 1-line block ×3, first 2 shown]
	v_fmamk_f32 v22, v30, 0xbf737871, v15
	v_fmac_f32_e32 v15, 0x3f737871, v30
	v_fmamk_f32 v35, v31, 0x3f737871, v32
	v_fmac_f32_e32 v32, 0xbf737871, v31
	v_sub_f32_e32 v4, v4, v26
	v_sub_f32_e32 v41, v5, v9
	v_add_f32_e32 v42, v5, v27
	v_fma_f32 v34, -0.5, v39, v1
	v_fmac_f32_e32 v22, 0xbf167918, v31
	v_fmac_f32_e32 v15, 0x3f167918, v31
	;; [unrolled: 1-line block ×3, first 2 shown]
	v_add_f32_e32 v26, v8, v26
	v_fmac_f32_e32 v32, 0x3f167918, v30
	v_sub_f32_e32 v8, v27, v23
	v_add_f32_e32 v38, v1, v5
	v_fmamk_f32 v37, v4, 0x3f737871, v34
	v_fmac_f32_e32 v22, 0x3e9e377a, v19
	v_fmac_f32_e32 v15, 0x3e9e377a, v19
	;; [unrolled: 1-line block ×4, first 2 shown]
	v_fma_f32 v19, -0.5, v42, v1
	v_add_f32_e32 v0, v41, v8
	v_fmac_f32_e32 v34, 0xbf737871, v4
	v_sub_f32_e32 v1, v9, v5
	v_sub_f32_e32 v5, v23, v27
	v_add_f32_e32 v8, v2, v6
	v_fmac_f32_e32 v37, 0x3f167918, v40
	v_fmamk_f32 v31, v40, 0xbf737871, v19
	v_fmac_f32_e32 v34, 0xbf167918, v40
	v_add_f32_e32 v1, v1, v5
	v_fmac_f32_e32 v19, 0x3f737871, v40
	v_add_f32_e32 v5, v8, v10
	v_add_f32_e32 v8, v10, v24
	;; [unrolled: 1-line block ×3, first 2 shown]
	v_fmac_f32_e32 v37, 0x3e9e377a, v0
	v_fmac_f32_e32 v31, 0x3f167918, v4
	;; [unrolled: 1-line block ×4, first 2 shown]
	v_add_f32_e32 v0, v5, v24
	v_fma_f32 v5, -0.5, v8, v2
	v_add_f32_e32 v4, v6, v28
	v_sub_f32_e32 v8, v7, v29
	v_add_f32_e32 v33, v33, v23
	v_fmac_f32_e32 v31, 0x3e9e377a, v1
	v_fmac_f32_e32 v19, 0x3e9e377a, v1
	v_add_f32_e32 v23, v0, v28
	v_sub_f32_e32 v0, v11, v25
	v_fma_f32 v1, -0.5, v4, v2
	v_fmamk_f32 v9, v8, 0xbf737871, v5
	v_sub_f32_e32 v2, v6, v10
	v_sub_f32_e32 v4, v28, v24
	v_fmac_f32_e32 v5, 0x3f737871, v8
	v_add_f32_e32 v30, v33, v27
	v_fmac_f32_e32 v9, 0xbf167918, v0
	v_fmamk_f32 v27, v0, 0x3f737871, v1
	v_add_f32_e32 v2, v2, v4
	v_fmac_f32_e32 v5, 0x3f167918, v0
	v_sub_f32_e32 v33, v10, v6
	v_sub_f32_e32 v38, v24, v28
	v_fmac_f32_e32 v1, 0xbf737871, v0
	v_add_f32_e32 v0, v11, v25
	v_fmac_f32_e32 v9, 0x3e9e377a, v2
	v_fmac_f32_e32 v5, 0x3e9e377a, v2
	v_add_f32_e32 v2, v7, v29
	v_fmac_f32_e32 v27, 0xbf167918, v8
	v_add_f32_e32 v4, v33, v38
	v_fmac_f32_e32 v1, 0x3f167918, v8
	v_fma_f32 v8, -0.5, v0, v3
	v_sub_f32_e32 v0, v6, v28
	v_add_f32_e32 v6, v3, v7
	v_sub_f32_e32 v10, v10, v24
	v_fmac_f32_e32 v3, -0.5, v2
	v_fmac_f32_e32 v27, 0x3e9e377a, v4
	v_fmac_f32_e32 v1, 0x3e9e377a, v4
	v_fmamk_f32 v24, v0, 0x3f737871, v8
	v_sub_f32_e32 v2, v7, v11
	v_sub_f32_e32 v4, v29, v25
	v_fmac_f32_e32 v8, 0xbf737871, v0
	v_fmamk_f32 v28, v10, 0xbf737871, v3
	v_sub_f32_e32 v7, v11, v7
	v_sub_f32_e32 v33, v25, v29
	v_fmac_f32_e32 v3, 0x3f737871, v10
	v_fmac_f32_e32 v24, 0x3f167918, v10
	v_add_f32_e32 v2, v2, v4
	v_fmac_f32_e32 v8, 0xbf167918, v10
	v_fmac_f32_e32 v28, 0x3f167918, v0
	v_add_f32_e32 v4, v7, v33
	v_fmac_f32_e32 v3, 0xbf167918, v0
	v_add_f32_e32 v0, v6, v11
	v_fmac_f32_e32 v24, 0x3e9e377a, v2
	v_fmac_f32_e32 v8, 0x3e9e377a, v2
	;; [unrolled: 1-line block ×4, first 2 shown]
	v_add_f32_e32 v0, v0, v25
	v_mul_f32_e32 v11, 0xbf167918, v24
	v_mul_f32_e32 v38, 0xbf167918, v8
	;; [unrolled: 1-line block ×8, first 2 shown]
	v_add_f32_e32 v29, v0, v29
	v_fmac_f32_e32 v11, 0x3f4f1bbd, v9
	v_fmac_f32_e32 v38, 0xbf4f1bbd, v5
	;; [unrolled: 1-line block ×8, first 2 shown]
	v_add_f32_e32 v0, v26, v23
	v_add_f32_e32 v2, v22, v11
	;; [unrolled: 1-line block ×5, first 2 shown]
	v_sub_f32_e32 v10, v26, v23
	v_sub_f32_e32 v26, v15, v38
	v_mad_u32_u24 v15, 0x48, v14, v36
	v_add_f32_e32 v4, v35, v25
	v_add_f32_e32 v6, v32, v33
	;; [unrolled: 1-line block ×5, first 2 shown]
	v_sub_f32_e32 v22, v22, v11
	v_sub_f32_e32 v11, v30, v29
	;; [unrolled: 1-line block ×8, first 2 shown]
	ds_write2_b64 v15, v[0:1], v[2:3] offset1:1
	ds_write2_b64 v15, v[4:5], v[6:7] offset0:2 offset1:3
	ds_write2_b64 v15, v[8:9], v[10:11] offset0:4 offset1:5
	;; [unrolled: 1-line block ×4, first 2 shown]
	v_add_nc_u32_e32 v0, 0x1000, v36
	v_add_nc_u32_e32 v1, 0x1a00, v36
	v_add_nc_u32_e32 v2, 0x2400, v36
	v_lshl_add_u32 v39, v18, 3, 0
	v_lshl_add_u32 v38, v21, 3, 0
	s_waitcnt lgkmcnt(0)
	s_barrier
	buffer_gl0_inv
	ds_read2_b64 v[8:11], v0 offset0:28 offset1:190
	ds_read2_b64 v[4:7], v1 offset0:32 offset1:248
	;; [unrolled: 1-line block ×3, first 2 shown]
	ds_read_b64 v[30:31], v36
	ds_read_b64 v[28:29], v39
	;; [unrolled: 1-line block ×3, first 2 shown]
	v_lshl_add_u32 v37, v20, 3, 0
                                        ; implicit-def: $vgpr23
                                        ; implicit-def: $vgpr33
	s_and_saveexec_b32 s1, s0
	s_cbranch_execz .LBB0_15
; %bb.14:
	ds_read_b64 v[32:33], v36 offset:8208
	ds_read_b64 v[26:27], v37
	ds_read_b64 v[22:23], v36 offset:12528
.LBB0_15:
	s_or_b32 exec_lo, exec_lo, s1
	v_mov_b32_e32 v19, 0xcccd
	v_and_b32_e32 v15, 0xff, v14
	v_mov_b32_e32 v52, 4
	v_mov_b32_e32 v62, 0xf0
	v_mul_u32_u24_sdwa v35, v18, v19 dst_sel:DWORD dst_unused:UNUSED_PAD src0_sel:WORD_0 src1_sel:DWORD
	v_mul_lo_u16 v34, 0xcd, v15
	v_lshrrev_b32_e32 v57, 19, v35
	v_mul_u32_u24_sdwa v35, v21, v19 dst_sel:DWORD dst_unused:UNUSED_PAD src0_sel:WORD_0 src1_sel:DWORD
	v_lshrrev_b16 v56, 11, v34
	v_mul_u32_u24_sdwa v19, v20, v19 dst_sel:DWORD dst_unused:UNUSED_PAD src0_sel:WORD_0 src1_sel:DWORD
	v_mul_lo_u16 v40, v57, 10
	v_lshrrev_b32_e32 v59, 19, v35
	v_mul_lo_u16 v34, v56, 10
	v_lshrrev_b32_e32 v19, 19, v19
	v_mul_u32_u24_sdwa v56, v56, v62 dst_sel:DWORD dst_unused:UNUSED_PAD src0_sel:WORD_0 src1_sel:DWORD
	v_sub_nc_u16 v60, v18, v40
	v_mul_lo_u16 v35, v59, 10
	v_sub_nc_u16 v58, v14, v34
	v_mul_u32_u24_e32 v57, 0xf0, v57
	v_mul_u32_u24_e32 v59, 0xf0, v59
	v_lshlrev_b32_sdwa v44, v52, v60 dst_sel:DWORD dst_unused:UNUSED_PAD src0_sel:DWORD src1_sel:WORD_0
	v_sub_nc_u16 v61, v21, v35
	v_lshlrev_b32_sdwa v34, v52, v58 dst_sel:DWORD dst_unused:UNUSED_PAD src0_sel:DWORD src1_sel:BYTE_0
	global_load_dwordx4 v[44:47], v44, s[12:13]
	v_lshlrev_b32_sdwa v35, v52, v61 dst_sel:DWORD dst_unused:UNUSED_PAD src0_sel:DWORD src1_sel:WORD_0
	s_clause 0x1
	global_load_dwordx4 v[40:43], v34, s[12:13]
	global_load_dwordx4 v[48:51], v35, s[12:13]
	v_mul_lo_u16 v34, v19, 10
	v_sub_nc_u16 v34, v20, v34
	v_lshlrev_b32_sdwa v35, v52, v34 dst_sel:DWORD dst_unused:UNUSED_PAD src0_sel:DWORD src1_sel:WORD_0
	global_load_dwordx4 v[52:55], v35, s[12:13]
	v_mov_b32_e32 v35, 3
	s_waitcnt vmcnt(0) lgkmcnt(0)
	s_barrier
	buffer_gl0_inv
	v_lshlrev_b32_sdwa v58, v35, v58 dst_sel:DWORD dst_unused:UNUSED_PAD src0_sel:DWORD src1_sel:BYTE_0
	v_lshlrev_b32_sdwa v60, v35, v60 dst_sel:DWORD dst_unused:UNUSED_PAD src0_sel:DWORD src1_sel:WORD_0
	v_lshlrev_b32_sdwa v61, v35, v61 dst_sel:DWORD dst_unused:UNUSED_PAD src0_sel:DWORD src1_sel:WORD_0
	v_add3_u32 v56, 0, v56, v58
	v_add3_u32 v57, 0, v57, v60
	;; [unrolled: 1-line block ×3, first 2 shown]
	v_mul_f32_e32 v61, v45, v11
	v_mul_f32_e32 v59, v41, v9
	;; [unrolled: 1-line block ×5, first 2 shown]
	v_fmac_f32_e32 v61, v44, v10
	v_fmac_f32_e32 v59, v40, v8
	v_fma_f32 v8, v40, v9, -v41
	v_fmac_f32_e32 v60, v42, v6
	v_fma_f32 v6, v42, v7, -v43
	v_mul_f32_e32 v7, v45, v10
	v_mul_f32_e32 v9, v47, v1
	;; [unrolled: 1-line block ×5, first 2 shown]
	v_fma_f32 v7, v44, v11, -v7
	v_fmac_f32_e32 v9, v46, v0
	v_fma_f32 v40, v46, v1, -v40
	v_mul_f32_e32 v11, v51, v3
	v_mul_f32_e32 v42, v51, v2
	v_fmac_f32_e32 v41, v48, v4
	v_mul_f32_e32 v43, v33, v53
	v_mul_f32_e32 v0, v32, v53
	;; [unrolled: 1-line block ×4, first 2 shown]
	v_fma_f32 v4, v48, v5, -v10
	v_fmac_f32_e32 v43, v32, v52
	v_fma_f32 v0, v33, v52, -v0
	v_fmac_f32_e32 v44, v22, v54
	v_fma_f32 v10, v23, v54, -v1
	v_fmac_f32_e32 v11, v50, v2
	v_fma_f32 v5, v50, v3, -v42
	v_add_f32_e32 v1, v30, v59
	v_add_f32_e32 v2, v59, v60
	v_sub_f32_e32 v32, v8, v6
	v_add_f32_e32 v3, v31, v8
	v_add_f32_e32 v8, v8, v6
	v_sub_f32_e32 v33, v59, v60
	v_add_f32_e32 v53, v43, v44
	v_add_f32_e32 v59, v0, v10
	;; [unrolled: 1-line block ×3, first 2 shown]
	v_sub_f32_e32 v42, v7, v40
	v_add_f32_e32 v45, v29, v7
	v_add_f32_e32 v7, v7, v40
	;; [unrolled: 1-line block ×6, first 2 shown]
	v_sub_f32_e32 v54, v0, v10
	v_add_f32_e32 v55, v27, v0
	v_sub_f32_e32 v43, v43, v44
	v_fma_f32 v30, -0.5, v2, v30
	v_fmac_f32_e32 v31, -0.5, v8
	v_fmac_f32_e32 v26, -0.5, v53
	;; [unrolled: 1-line block ×3, first 2 shown]
	v_sub_f32_e32 v46, v61, v9
	v_fma_f32 v28, -0.5, v23, v28
	v_fmac_f32_e32 v29, -0.5, v7
	v_add_f32_e32 v47, v24, v41
	v_sub_f32_e32 v49, v4, v5
	v_add_f32_e32 v50, v25, v4
	v_sub_f32_e32 v41, v41, v11
	v_fma_f32 v24, -0.5, v48, v24
	v_fmac_f32_e32 v25, -0.5, v51
	v_add_f32_e32 v0, v1, v60
	v_add_f32_e32 v1, v3, v6
	;; [unrolled: 1-line block ×5, first 2 shown]
	v_fmamk_f32 v6, v32, 0xbf5db3d7, v30
	v_fmac_f32_e32 v30, 0x3f5db3d7, v32
	v_fmamk_f32 v7, v33, 0x3f5db3d7, v31
	v_fmac_f32_e32 v31, 0xbf5db3d7, v33
	;; [unrolled: 2-line block ×4, first 2 shown]
	v_add_f32_e32 v3, v45, v40
	v_fmamk_f32 v8, v42, 0xbf5db3d7, v28
	v_fmamk_f32 v9, v46, 0x3f5db3d7, v29
	v_fmac_f32_e32 v28, 0x3f5db3d7, v42
	v_fmac_f32_e32 v29, 0xbf5db3d7, v46
	v_add_f32_e32 v4, v47, v11
	v_add_f32_e32 v5, v50, v5
	v_fmamk_f32 v10, v49, 0xbf5db3d7, v24
	v_fmamk_f32 v11, v41, 0x3f5db3d7, v25
	v_fmac_f32_e32 v24, 0x3f5db3d7, v49
	v_fmac_f32_e32 v25, 0xbf5db3d7, v41
	ds_write2_b64 v56, v[0:1], v[6:7] offset1:10
	ds_write_b64 v56, v[30:31] offset:160
	ds_write2_b64 v57, v[2:3], v[8:9] offset1:10
	ds_write_b64 v57, v[28:29] offset:160
	;; [unrolled: 2-line block ×3, first 2 shown]
	s_and_saveexec_b32 s1, s0
	s_cbranch_execz .LBB0_17
; %bb.16:
	v_mul_lo_u16 v0, v19, 30
	v_lshlrev_b32_sdwa v1, v35, v34 dst_sel:DWORD dst_unused:UNUSED_PAD src0_sel:DWORD src1_sel:WORD_0
	v_lshlrev_b32_sdwa v0, v35, v0 dst_sel:DWORD dst_unused:UNUSED_PAD src0_sel:DWORD src1_sel:WORD_0
	v_add3_u32 v0, 0, v1, v0
	ds_write2_b64 v0, v[22:23], v[32:33] offset1:10
	ds_write_b64 v0, v[26:27] offset:160
.LBB0_17:
	s_or_b32 exec_lo, exec_lo, s1
	v_add_nc_u32_e32 v0, 0x1000, v36
	v_add_nc_u32_e32 v1, 0x1a00, v36
	;; [unrolled: 1-line block ×3, first 2 shown]
	s_waitcnt lgkmcnt(0)
	s_barrier
	buffer_gl0_inv
	ds_read2_b64 v[8:11], v0 offset0:28 offset1:190
	ds_read2_b64 v[4:7], v1 offset0:32 offset1:248
	;; [unrolled: 1-line block ×3, first 2 shown]
	ds_read_b64 v[30:31], v36
	ds_read_b64 v[28:29], v39
	;; [unrolled: 1-line block ×3, first 2 shown]
	s_and_saveexec_b32 s1, s0
	s_cbranch_execz .LBB0_19
; %bb.18:
	ds_read_b64 v[32:33], v36 offset:8208
	ds_read_b64 v[22:23], v37
	ds_read_b64 v[26:27], v36 offset:12528
.LBB0_19:
	s_or_b32 exec_lo, exec_lo, s1
	v_mul_lo_u16 v15, 0x89, v15
	v_mov_b32_e32 v19, 0x8889
	v_mov_b32_e32 v52, 4
	v_mov_b32_e32 v61, 0x2d0
	v_lshrrev_b16 v35, 12, v15
	v_mul_u32_u24_sdwa v15, v18, v19 dst_sel:DWORD dst_unused:UNUSED_PAD src0_sel:WORD_0 src1_sel:DWORD
	v_mul_u32_u24_sdwa v40, v21, v19 dst_sel:DWORD dst_unused:UNUSED_PAD src0_sel:WORD_0 src1_sel:DWORD
	v_mul_lo_u16 v34, v35, 30
	v_lshrrev_b32_e32 v56, 20, v15
	v_mul_u32_u24_sdwa v15, v20, v19 dst_sel:DWORD dst_unused:UNUSED_PAD src0_sel:WORD_0 src1_sel:DWORD
	v_lshrrev_b32_e32 v58, 20, v40
	v_mul_u32_u24_sdwa v35, v35, v61 dst_sel:DWORD dst_unused:UNUSED_PAD src0_sel:WORD_0 src1_sel:DWORD
	v_sub_nc_u16 v57, v14, v34
	v_mul_lo_u16 v19, v56, 30
	v_lshrrev_b32_e32 v15, 20, v15
	v_mul_lo_u16 v44, v58, 30
	v_mul_u32_u24_e32 v56, 0x2d0, v56
	v_lshlrev_b32_sdwa v34, v52, v57 dst_sel:DWORD dst_unused:UNUSED_PAD src0_sel:DWORD src1_sel:BYTE_0
	v_sub_nc_u16 v59, v18, v19
	v_mul_lo_u16 v19, v15, 30
	v_sub_nc_u16 v60, v21, v44
	v_mul_u32_u24_e32 v58, 0x2d0, v58
	global_load_dwordx4 v[40:43], v34, s[12:13] offset:160
	v_lshlrev_b32_sdwa v34, v52, v59 dst_sel:DWORD dst_unused:UNUSED_PAD src0_sel:DWORD src1_sel:WORD_0
	v_sub_nc_u16 v19, v20, v19
	v_lshlrev_b32_sdwa v48, v52, v60 dst_sel:DWORD dst_unused:UNUSED_PAD src0_sel:DWORD src1_sel:WORD_0
	s_clause 0x1
	global_load_dwordx4 v[44:47], v34, s[12:13] offset:160
	global_load_dwordx4 v[48:51], v48, s[12:13] offset:160
	v_lshlrev_b32_sdwa v34, v52, v19 dst_sel:DWORD dst_unused:UNUSED_PAD src0_sel:DWORD src1_sel:WORD_0
	global_load_dwordx4 v[52:55], v34, s[12:13] offset:160
	v_mov_b32_e32 v34, 3
	s_waitcnt vmcnt(0) lgkmcnt(0)
	s_barrier
	buffer_gl0_inv
	v_lshlrev_b32_sdwa v57, v34, v57 dst_sel:DWORD dst_unused:UNUSED_PAD src0_sel:DWORD src1_sel:BYTE_0
	v_add3_u32 v35, 0, v35, v57
	v_lshlrev_b32_sdwa v57, v34, v59 dst_sel:DWORD dst_unused:UNUSED_PAD src0_sel:DWORD src1_sel:WORD_0
	v_lshlrev_b32_sdwa v59, v34, v60 dst_sel:DWORD dst_unused:UNUSED_PAD src0_sel:DWORD src1_sel:WORD_0
	v_add3_u32 v56, 0, v56, v57
	v_add3_u32 v58, 0, v58, v59
	v_mul_f32_e32 v57, v41, v9
	v_mul_f32_e32 v41, v41, v8
	;; [unrolled: 1-line block ×4, first 2 shown]
	v_fmac_f32_e32 v57, v40, v8
	v_fma_f32 v8, v40, v9, -v41
	v_fmac_f32_e32 v60, v42, v6
	v_fma_f32 v6, v42, v7, -v43
	v_mul_f32_e32 v7, v45, v11
	v_mul_f32_e32 v9, v45, v10
	;; [unrolled: 1-line block ×6, first 2 shown]
	v_fmac_f32_e32 v7, v44, v10
	v_fma_f32 v9, v44, v11, -v9
	v_mul_f32_e32 v44, v51, v3
	v_mul_f32_e32 v10, v51, v2
	;; [unrolled: 1-line block ×4, first 2 shown]
	v_fmac_f32_e32 v40, v46, v0
	v_fma_f32 v0, v46, v1, -v41
	v_mul_f32_e32 v41, v27, v55
	v_mul_f32_e32 v1, v26, v55
	v_fmac_f32_e32 v42, v48, v4
	v_fma_f32 v4, v48, v5, -v43
	v_fmac_f32_e32 v44, v50, v2
	v_fma_f32 v5, v50, v3, -v10
	v_fmac_f32_e32 v11, v32, v52
	v_fma_f32 v10, v33, v52, -v45
	v_fmac_f32_e32 v41, v26, v54
	v_fma_f32 v32, v27, v54, -v1
	v_add_f32_e32 v3, v57, v60
	v_sub_f32_e32 v26, v8, v6
	v_add_f32_e32 v27, v31, v8
	v_add_f32_e32 v8, v8, v6
	;; [unrolled: 1-line block ×3, first 2 shown]
	v_fma_f32 v30, -0.5, v3, v30
	v_add_f32_e32 v45, v42, v44
	v_add_f32_e32 v3, v27, v6
	v_fmac_f32_e32 v31, -0.5, v8
	v_add_f32_e32 v6, v7, v40
	v_sub_f32_e32 v8, v9, v0
	v_add_f32_e32 v27, v29, v9
	v_add_f32_e32 v9, v9, v0
	v_sub_f32_e32 v46, v4, v5
	v_add_f32_e32 v47, v25, v4
	v_add_f32_e32 v4, v4, v5
	v_add_f32_e32 v49, v11, v41
	v_add_f32_e32 v52, v10, v32
	v_sub_f32_e32 v33, v57, v60
	v_add_f32_e32 v2, v1, v60
	v_add_f32_e32 v1, v28, v7
	v_sub_f32_e32 v7, v7, v40
	v_add_f32_e32 v43, v24, v42
	v_sub_f32_e32 v42, v42, v44
	v_add_f32_e32 v48, v22, v11
	v_sub_f32_e32 v50, v10, v32
	v_add_f32_e32 v51, v23, v10
	v_sub_f32_e32 v53, v11, v41
	v_fma_f32 v28, -0.5, v6, v28
	v_fmac_f32_e32 v29, -0.5, v9
	v_fma_f32 v24, -0.5, v45, v24
	v_fmac_f32_e32 v25, -0.5, v4
	v_fmac_f32_e32 v22, -0.5, v49
	;; [unrolled: 1-line block ×3, first 2 shown]
	v_fmamk_f32 v10, v26, 0xbf5db3d7, v30
	v_fmac_f32_e32 v30, 0x3f5db3d7, v26
	v_fmamk_f32 v11, v33, 0x3f5db3d7, v31
	v_fmac_f32_e32 v31, 0xbf5db3d7, v33
	v_add_f32_e32 v26, v1, v40
	v_add_f32_e32 v27, v27, v0
	;; [unrolled: 1-line block ×6, first 2 shown]
	v_fmamk_f32 v32, v8, 0xbf5db3d7, v28
	v_fmac_f32_e32 v28, 0x3f5db3d7, v8
	v_fmamk_f32 v33, v7, 0x3f5db3d7, v29
	v_fmac_f32_e32 v29, 0xbf5db3d7, v7
	;; [unrolled: 2-line block ×6, first 2 shown]
	ds_write2_b64 v35, v[2:3], v[10:11] offset1:30
	ds_write_b64 v35, v[30:31] offset:480
	ds_write2_b64 v56, v[26:27], v[32:33] offset1:30
	ds_write_b64 v56, v[28:29] offset:480
	;; [unrolled: 2-line block ×3, first 2 shown]
	s_and_saveexec_b32 s1, s0
	s_cbranch_execz .LBB0_21
; %bb.20:
	v_mul_lo_u16 v2, 0x5a, v15
	v_lshlrev_b32_sdwa v3, v34, v19 dst_sel:DWORD dst_unused:UNUSED_PAD src0_sel:DWORD src1_sel:WORD_0
	v_lshlrev_b32_sdwa v2, v34, v2 dst_sel:DWORD dst_unused:UNUSED_PAD src0_sel:DWORD src1_sel:WORD_0
	v_add3_u32 v2, 0, v3, v2
	ds_write2_b64 v2, v[4:5], v[8:9] offset1:30
	ds_write_b64 v2, v[22:23] offset:480
.LBB0_21:
	s_or_b32 exec_lo, exec_lo, s1
	s_waitcnt lgkmcnt(0)
	s_barrier
	buffer_gl0_inv
	ds_read_b64 v[2:3], v36
	ds_read_b64 v[32:33], v36 offset:2160
	ds_read_b64 v[30:31], v36 offset:4320
	;; [unrolled: 1-line block ×5, first 2 shown]
	v_cmp_gt_u32_e64 s1, 0x6c, v14
	s_and_saveexec_b32 s2, s1
	s_cbranch_execz .LBB0_23
; %bb.22:
	ds_read_b64 v[6:7], v36 offset:3456
	ds_read_b64 v[24:25], v36 offset:5616
	;; [unrolled: 1-line block ×4, first 2 shown]
	ds_read_b64 v[0:1], v39
	ds_read_b64 v[22:23], v36 offset:12096
.LBB0_23:
	s_or_b32 exec_lo, exec_lo, s2
	v_add_nc_u32_e32 v15, 0xffffffa6, v14
	v_cmp_gt_u32_e64 s2, 0x5a, v14
	v_mov_b32_e32 v35, 0
	v_mov_b32_e32 v48, 5
	v_cndmask_b32_e64 v58, v15, v14, s2
	v_mov_b32_e32 v15, 0x2d83
	v_mul_i32_i24_e32 v34, 5, v58
	v_mul_u32_u24_sdwa v15, v18, v15 dst_sel:DWORD dst_unused:UNUSED_PAD src0_sel:WORD_0 src1_sel:DWORD
	v_lshlrev_b32_e32 v58, 3, v58
	v_lshlrev_b64 v[34:35], 3, v[34:35]
	v_lshrrev_b32_e32 v15, 20, v15
	v_mul_lo_u16 v19, 0x5a, v15
	v_add_co_u32 v34, s2, s12, v34
	v_add_co_ci_u32_e64 v35, s2, s13, v35, s2
	v_sub_nc_u16 v19, v18, v19
	v_cmp_lt_u32_e64 s2, 0x59, v14
	s_clause 0x1
	global_load_dwordx4 v[40:43], v[34:35], off offset:640
	global_load_dwordx4 v[44:47], v[34:35], off offset:656
	v_mul_u32_u24_sdwa v48, v19, v48 dst_sel:DWORD dst_unused:UNUSED_PAD src0_sel:WORD_0 src1_sel:DWORD
	global_load_dwordx2 v[34:35], v[34:35], off offset:672
	v_cndmask_b32_e64 v59, 0, 0x10e0, s2
	v_lshlrev_b32_e32 v56, 3, v48
	s_clause 0x2
	global_load_dwordx4 v[48:51], v56, s[12:13] offset:640
	global_load_dwordx4 v[52:55], v56, s[12:13] offset:656
	global_load_dwordx2 v[56:57], v56, s[12:13] offset:672
	v_add3_u32 v58, 0, v59, v58
	s_waitcnt vmcnt(0) lgkmcnt(0)
	s_barrier
	buffer_gl0_inv
	v_add_nc_u32_e32 v59, 0x400, v58
	v_add_nc_u32_e32 v60, 0x800, v58
	v_mul_f32_e32 v61, v41, v33
	v_mul_f32_e32 v41, v41, v32
	;; [unrolled: 1-line block ×5, first 2 shown]
	v_fmac_f32_e32 v61, v40, v32
	v_fma_f32 v33, v40, v33, -v41
	v_mul_f32_e32 v32, v47, v26
	v_mul_f32_e32 v40, v35, v11
	v_fmac_f32_e32 v62, v42, v30
	v_fma_f32 v30, v42, v31, -v43
	v_mul_f32_e32 v31, v35, v10
	v_mul_f32_e32 v63, v45, v29
	;; [unrolled: 1-line block ×3, first 2 shown]
	v_fmac_f32_e32 v64, v46, v26
	v_fma_f32 v26, v46, v27, -v32
	v_fmac_f32_e32 v40, v34, v10
	v_fma_f32 v10, v34, v11, -v31
	v_mul_f32_e32 v32, v5, v53
	v_mul_f32_e32 v34, v4, v53
	;; [unrolled: 1-line block ×4, first 2 shown]
	v_fmac_f32_e32 v63, v44, v28
	v_fma_f32 v28, v44, v29, -v45
	v_mul_f32_e32 v27, v7, v49
	v_mul_f32_e32 v11, v6, v49
	v_mul_f32_e32 v29, v25, v51
	v_mul_f32_e32 v31, v24, v51
	v_mul_f32_e32 v41, v8, v55
	v_mul_f32_e32 v42, v23, v57
	v_add_f32_e32 v44, v2, v62
	v_fmac_f32_e32 v32, v4, v52
	v_fma_f32 v4, v5, v52, -v34
	v_fmac_f32_e32 v35, v8, v54
	v_fma_f32 v8, v23, v56, -v43
	v_add_f32_e32 v45, v62, v64
	v_add_f32_e32 v47, v3, v30
	;; [unrolled: 1-line block ×3, first 2 shown]
	v_fmac_f32_e32 v27, v6, v48
	v_fma_f32 v48, v7, v48, -v11
	v_add_f32_e32 v7, v28, v10
	v_fmac_f32_e32 v29, v24, v50
	v_fma_f32 v24, v25, v50, -v31
	v_fma_f32 v5, v9, v54, -v41
	v_fmac_f32_e32 v42, v22, v56
	v_add_f32_e32 v9, v44, v64
	v_add_f32_e32 v44, v4, v8
	v_sub_f32_e32 v46, v30, v26
	v_add_f32_e32 v30, v30, v26
	v_add_f32_e32 v53, v63, v40
	;; [unrolled: 1-line block ×3, first 2 shown]
	v_sub_f32_e32 v11, v63, v40
	v_fma_f32 v25, -0.5, v45, v2
	v_add_f32_e32 v2, v47, v26
	v_add_f32_e32 v22, v51, v40
	v_fmac_f32_e32 v33, -0.5, v7
	v_sub_f32_e32 v23, v24, v5
	v_add_f32_e32 v26, v1, v24
	v_add_f32_e32 v24, v24, v5
	;; [unrolled: 1-line block ×4, first 2 shown]
	v_sub_f32_e32 v45, v32, v42
	v_fmac_f32_e32 v48, -0.5, v44
	v_sub_f32_e32 v49, v62, v64
	v_sub_f32_e32 v55, v28, v10
	v_fmac_f32_e32 v3, -0.5, v30
	v_fmac_f32_e32 v61, -0.5, v53
	v_add_f32_e32 v6, v6, v10
	v_add_f32_e32 v7, v0, v29
	;; [unrolled: 1-line block ×3, first 2 shown]
	v_sub_f32_e32 v28, v29, v35
	v_add_f32_e32 v34, v27, v32
	v_sub_f32_e32 v41, v4, v8
	v_fmamk_f32 v50, v11, 0x3f5db3d7, v33
	v_fmac_f32_e32 v33, 0xbf5db3d7, v11
	v_fmac_f32_e32 v1, -0.5, v24
	v_fmac_f32_e32 v27, -0.5, v40
	v_fmamk_f32 v11, v45, 0x3f5db3d7, v48
	v_fmac_f32_e32 v48, 0xbf5db3d7, v45
	v_fmamk_f32 v47, v46, 0xbf5db3d7, v25
	v_fmac_f32_e32 v25, 0x3f5db3d7, v46
	;; [unrolled: 2-line block ×4, first 2 shown]
	v_add_f32_e32 v29, v9, v22
	v_add_f32_e32 v30, v2, v6
	v_sub_f32_e32 v31, v9, v22
	v_sub_f32_e32 v32, v2, v6
	v_add_f32_e32 v2, v7, v35
	v_fmac_f32_e32 v0, -0.5, v10
	v_add_f32_e32 v5, v26, v5
	v_add_f32_e32 v6, v43, v8
	v_mul_f32_e32 v24, 0xbf5db3d7, v50
	v_mul_f32_e32 v26, 0xbf5db3d7, v33
	v_mul_f32_e32 v35, 0.5, v50
	v_fmamk_f32 v8, v28, 0x3f5db3d7, v1
	v_fmac_f32_e32 v1, 0xbf5db3d7, v28
	v_fmamk_f32 v51, v41, 0xbf5db3d7, v27
	v_fmac_f32_e32 v27, 0x3f5db3d7, v41
	v_mul_f32_e32 v9, 0xbf5db3d7, v11
	v_mul_f32_e32 v10, 0xbf5db3d7, v48
	v_mul_f32_e32 v11, 0.5, v11
	v_mul_f32_e32 v28, -0.5, v48
	v_mul_f32_e32 v50, -0.5, v33
	v_add_f32_e32 v4, v34, v42
	v_fmamk_f32 v7, v23, 0xbf5db3d7, v0
	v_fmac_f32_e32 v0, 0x3f5db3d7, v23
	v_fmac_f32_e32 v24, 0.5, v49
	v_fmac_f32_e32 v26, -0.5, v61
	v_fmac_f32_e32 v35, 0x3f5db3d7, v49
	v_fmac_f32_e32 v9, 0.5, v51
	v_fmac_f32_e32 v10, -0.5, v27
	v_fmac_f32_e32 v11, 0x3f5db3d7, v51
	v_fmac_f32_e32 v28, 0x3f5db3d7, v27
	;; [unrolled: 1-line block ×3, first 2 shown]
	v_sub_f32_e32 v22, v2, v4
	v_sub_f32_e32 v23, v5, v6
	v_add_f32_e32 v33, v47, v24
	v_add_f32_e32 v40, v25, v26
	;; [unrolled: 1-line block ×3, first 2 shown]
	v_sub_f32_e32 v42, v47, v24
	v_sub_f32_e32 v44, v25, v26
	;; [unrolled: 1-line block ×6, first 2 shown]
	v_add_f32_e32 v41, v3, v50
	v_sub_f32_e32 v43, v46, v35
	v_sub_f32_e32 v45, v3, v50
	ds_write2_b64 v58, v[29:30], v[33:34] offset1:90
	ds_write2_b64 v59, v[40:41], v[31:32] offset0:52 offset1:142
	ds_write2_b64 v60, v[42:43], v[44:45] offset0:104 offset1:194
	s_and_saveexec_b32 s2, s1
	s_cbranch_execz .LBB0_25
; %bb.24:
	v_mov_b32_e32 v3, 3
	v_mul_lo_u16 v15, 0x21c, v15
	v_add_f32_e32 v8, v8, v11
	v_add_f32_e32 v7, v7, v9
	;; [unrolled: 1-line block ×3, first 2 shown]
	v_lshlrev_b32_sdwa v19, v3, v19 dst_sel:DWORD dst_unused:UNUSED_PAD src0_sel:DWORD src1_sel:WORD_0
	v_lshlrev_b32_sdwa v3, v3, v15 dst_sel:DWORD dst_unused:UNUSED_PAD src0_sel:DWORD src1_sel:WORD_0
	v_add_f32_e32 v1, v1, v28
	v_add_f32_e32 v0, v0, v10
	v_add3_u32 v11, 0, v19, v3
	v_add_f32_e32 v3, v5, v6
	v_add_nc_u32_e32 v4, 0x400, v11
	v_add_nc_u32_e32 v5, 0x800, v11
	ds_write2_b64 v11, v[2:3], v[7:8] offset1:90
	ds_write2_b64 v4, v[0:1], v[22:23] offset0:52 offset1:142
	ds_write2_b64 v5, v[24:25], v[26:27] offset0:104 offset1:194
.LBB0_25:
	s_or_b32 exec_lo, exec_lo, s2
	v_add_nc_u32_e32 v0, 0x1000, v36
	v_add_nc_u32_e32 v1, 0x1a00, v36
	;; [unrolled: 1-line block ×3, first 2 shown]
	s_waitcnt lgkmcnt(0)
	s_barrier
	buffer_gl0_inv
	ds_read2_b64 v[8:11], v0 offset0:28 offset1:190
	ds_read2_b64 v[4:7], v1 offset0:32 offset1:248
	;; [unrolled: 1-line block ×3, first 2 shown]
	ds_read_b64 v[32:33], v36
	ds_read_b64 v[30:31], v39
	;; [unrolled: 1-line block ×3, first 2 shown]
	s_and_saveexec_b32 s1, s0
	s_cbranch_execz .LBB0_27
; %bb.26:
	ds_read_b64 v[24:25], v36 offset:8208
	ds_read_b64 v[22:23], v37
	ds_read_b64 v[26:27], v36 offset:12528
.LBB0_27:
	s_or_b32 exec_lo, exec_lo, s1
	v_lshlrev_b32_e32 v34, 1, v14
	v_mov_b32_e32 v35, 0
	v_lshlrev_b64 v[40:41], 3, v[34:35]
	v_lshlrev_b32_e32 v34, 1, v18
	v_lshlrev_b64 v[42:43], 3, v[34:35]
	v_add_co_u32 v15, s1, s12, v40
	v_add_co_ci_u32_e64 v19, s1, s13, v41, s1
	v_lshlrev_b32_e32 v34, 1, v21
	v_add_co_u32 v40, s1, 0x1000, v15
	v_add_co_ci_u32_e64 v41, s1, 0, v19, s1
	v_add_co_u32 v15, s1, s12, v42
	v_lshlrev_b64 v[44:45], 3, v[34:35]
	v_add_co_ci_u32_e64 v19, s1, s13, v43, s1
	v_add_co_u32 v46, s1, 0x1000, v15
	global_load_dwordx4 v[40:43], v[40:41], off offset:144
	v_add_co_ci_u32_e64 v47, s1, 0, v19, s1
	v_add_co_u32 v15, s1, s12, v44
	v_add_co_ci_u32_e64 v19, s1, s13, v45, s1
	global_load_dwordx4 v[44:47], v[46:47], off offset:144
	v_add_co_u32 v48, s1, 0x1000, v15
	v_add_co_ci_u32_e64 v49, s1, 0, v19, s1
	global_load_dwordx4 v[48:51], v[48:49], off offset:144
	s_waitcnt vmcnt(0) lgkmcnt(0)
	s_barrier
	buffer_gl0_inv
	v_mul_f32_e32 v15, v41, v9
	v_mul_f32_e32 v19, v41, v8
	;; [unrolled: 1-line block ×4, first 2 shown]
	v_fmac_f32_e32 v15, v40, v8
	v_fma_f32 v8, v40, v9, -v19
	v_fmac_f32_e32 v34, v42, v6
	v_mul_f32_e32 v6, v45, v11
	v_mul_f32_e32 v9, v45, v10
	v_mul_f32_e32 v19, v47, v1
	v_mul_f32_e32 v40, v47, v0
	v_fma_f32 v7, v42, v7, -v41
	v_fmac_f32_e32 v6, v44, v10
	v_fma_f32 v9, v44, v11, -v9
	v_fmac_f32_e32 v19, v46, v0
	v_fma_f32 v10, v46, v1, -v40
	v_mul_f32_e32 v11, v49, v5
	v_mul_f32_e32 v0, v49, v4
	;; [unrolled: 1-line block ×4, first 2 shown]
	v_sub_f32_e32 v43, v8, v7
	v_add_f32_e32 v44, v33, v8
	v_add_f32_e32 v8, v8, v7
	;; [unrolled: 1-line block ×3, first 2 shown]
	v_fmac_f32_e32 v11, v48, v4
	v_fma_f32 v45, v48, v5, -v0
	v_fmac_f32_e32 v40, v50, v2
	v_fma_f32 v46, v50, v3, -v1
	v_add_f32_e32 v1, v44, v7
	v_fmac_f32_e32 v33, -0.5, v8
	v_add_f32_e32 v4, v30, v6
	v_sub_f32_e32 v7, v9, v10
	v_add_f32_e32 v8, v31, v9
	v_add_f32_e32 v9, v9, v10
	;; [unrolled: 1-line block ×4, first 2 shown]
	v_sub_f32_e32 v15, v15, v34
	v_fma_f32 v32, -0.5, v42, v32
	v_sub_f32_e32 v6, v6, v19
	v_add_f32_e32 v4, v4, v19
	v_fmac_f32_e32 v31, -0.5, v9
	v_add_f32_e32 v9, v11, v40
	v_add_f32_e32 v19, v45, v46
	;; [unrolled: 1-line block ×3, first 2 shown]
	v_fma_f32 v30, -0.5, v5, v30
	v_fmamk_f32 v3, v15, 0x3f5db3d7, v33
	v_fmac_f32_e32 v33, 0xbf5db3d7, v15
	v_add_f32_e32 v5, v8, v10
	v_add_f32_e32 v8, v28, v11
	;; [unrolled: 1-line block ×3, first 2 shown]
	v_fmamk_f32 v2, v43, 0xbf5db3d7, v32
	v_sub_f32_e32 v10, v45, v46
	v_sub_f32_e32 v11, v11, v40
	v_fma_f32 v28, -0.5, v9, v28
	v_fmac_f32_e32 v29, -0.5, v19
	v_fmac_f32_e32 v32, 0x3f5db3d7, v43
	ds_write_b64 v36, v[0:1]
	v_fmamk_f32 v0, v7, 0xbf5db3d7, v30
	v_fmamk_f32 v1, v6, 0x3f5db3d7, v31
	v_fmac_f32_e32 v30, 0x3f5db3d7, v7
	v_fmac_f32_e32 v31, 0xbf5db3d7, v6
	v_add_f32_e32 v6, v8, v40
	v_add_f32_e32 v7, v15, v46
	ds_write_b64 v36, v[2:3] offset:4320
	ds_write_b64 v36, v[32:33] offset:8640
	ds_write_b64 v39, v[4:5]
	v_fmamk_f32 v2, v10, 0xbf5db3d7, v28
	v_fmamk_f32 v3, v11, 0x3f5db3d7, v29
	v_fmac_f32_e32 v28, 0x3f5db3d7, v10
	v_fmac_f32_e32 v29, 0xbf5db3d7, v11
	ds_write_b64 v39, v[0:1] offset:4320
	ds_write_b64 v39, v[30:31] offset:8640
	ds_write_b64 v38, v[6:7]
	ds_write_b64 v38, v[2:3] offset:4320
	ds_write_b64 v38, v[28:29] offset:8640
	s_and_saveexec_b32 s1, s0
	s_cbranch_execz .LBB0_29
; %bb.28:
	v_subrev_nc_u32_e32 v0, 54, v14
	v_cndmask_b32_e64 v0, v0, v20, s0
	v_lshlrev_b32_e32 v34, 1, v0
	v_lshlrev_b64 v[0:1], 3, v[34:35]
	v_add_co_u32 v0, s0, s12, v0
	v_add_co_ci_u32_e64 v1, s0, s13, v1, s0
	v_add_co_u32 v0, s0, 0x1000, v0
	v_add_co_ci_u32_e64 v1, s0, 0, v1, s0
	global_load_dwordx4 v[0:3], v[0:1], off offset:144
	s_waitcnt vmcnt(0)
	v_mul_f32_e32 v4, v24, v1
	v_mul_f32_e32 v5, v26, v3
	;; [unrolled: 1-line block ×4, first 2 shown]
	v_fma_f32 v3, v25, v0, -v4
	v_fma_f32 v4, v27, v2, -v5
	v_fmac_f32_e32 v1, v24, v0
	v_fmac_f32_e32 v6, v26, v2
	v_add_f32_e32 v5, v23, v3
	v_add_f32_e32 v0, v3, v4
	;; [unrolled: 1-line block ×4, first 2 shown]
	v_sub_f32_e32 v7, v1, v6
	v_sub_f32_e32 v9, v3, v4
	v_fma_f32 v1, -0.5, v0, v23
	v_add_f32_e32 v3, v5, v4
	v_fma_f32 v0, -0.5, v2, v22
	v_add_f32_e32 v2, v8, v6
	v_fmamk_f32 v5, v7, 0xbf5db3d7, v1
	v_fmac_f32_e32 v1, 0x3f5db3d7, v7
	v_fmamk_f32 v4, v9, 0x3f5db3d7, v0
	v_fmac_f32_e32 v0, 0xbf5db3d7, v9
	ds_write_b64 v36, v[2:3] offset:3888
	ds_write_b64 v36, v[0:1] offset:8208
	;; [unrolled: 1-line block ×3, first 2 shown]
.LBB0_29:
	s_or_b32 exec_lo, exec_lo, s1
	s_waitcnt lgkmcnt(0)
	s_barrier
	buffer_gl0_inv
	ds_read_b64 v[2:3], v36
	v_lshlrev_b32_e32 v0, 3, v14
	s_add_u32 s1, s12, 0x3250
	s_addc_u32 s2, s13, 0
	s_mov_b32 s3, exec_lo
                                        ; implicit-def: $vgpr5
                                        ; implicit-def: $vgpr6
	v_sub_nc_u32_e32 v4, 0, v0
                                        ; implicit-def: $vgpr0
	v_cmpx_ne_u32_e32 0, v14
	s_xor_b32 s3, exec_lo, s3
	s_cbranch_execz .LBB0_31
; %bb.30:
	v_mov_b32_e32 v15, 0
	v_lshlrev_b64 v[0:1], 3, v[14:15]
	v_add_co_u32 v0, s0, s1, v0
	v_add_co_ci_u32_e64 v1, s0, s2, v1, s0
	global_load_dwordx2 v[7:8], v[0:1], off
	ds_read_b64 v[0:1], v4 offset:12960
	s_waitcnt lgkmcnt(0)
	v_sub_f32_e32 v5, v2, v0
	v_add_f32_e32 v6, v1, v3
	v_sub_f32_e32 v1, v3, v1
	v_add_f32_e32 v0, v0, v2
	v_mul_f32_e32 v3, 0.5, v5
	v_mul_f32_e32 v2, 0.5, v6
	v_mul_f32_e32 v1, 0.5, v1
	s_waitcnt vmcnt(0)
	v_mul_f32_e32 v6, v8, v3
	v_fma_f32 v9, v2, v8, v1
	v_fma_f32 v1, v2, v8, -v1
	v_fma_f32 v5, 0.5, v0, v6
	v_fma_f32 v0, v0, 0.5, -v6
	v_fma_f32 v6, -v7, v3, v9
	v_fma_f32 v1, -v7, v3, v1
	v_fmac_f32_e32 v5, v7, v2
	v_fma_f32 v0, -v7, v2, v0
                                        ; implicit-def: $vgpr2_vgpr3
.LBB0_31:
	s_andn2_saveexec_b32 s0, s3
	s_cbranch_execz .LBB0_33
; %bb.32:
	v_mov_b32_e32 v6, 0
	s_waitcnt lgkmcnt(0)
	v_add_f32_e32 v5, v2, v3
	v_sub_f32_e32 v0, v2, v3
	ds_read_b32 v1, v6 offset:6484
	s_waitcnt lgkmcnt(0)
	v_xor_b32_e32 v2, 0x80000000, v1
	v_mov_b32_e32 v1, 0
	ds_write_b32 v6, v2 offset:6484
.LBB0_33:
	s_or_b32 exec_lo, exec_lo, s0
	v_mov_b32_e32 v19, 0
	s_waitcnt lgkmcnt(0)
	v_lshlrev_b64 v[2:3], 3, v[18:19]
	v_mov_b32_e32 v22, v19
	v_add_nc_u32_e32 v18, 0x288, v14
	v_lshlrev_b64 v[7:8], 3, v[21:22]
	v_add_co_u32 v2, s0, s1, v2
	v_add_co_ci_u32_e64 v3, s0, s2, v3, s0
	v_mov_b32_e32 v21, v19
	v_add_co_u32 v7, s0, s1, v7
	global_load_dwordx2 v[2:3], v[2:3], off
	v_add_co_ci_u32_e64 v8, s0, s2, v8, s0
	v_lshlrev_b64 v[9:10], 3, v[20:21]
	v_lshlrev_b64 v[20:21], 3, v[18:19]
	global_load_dwordx2 v[7:8], v[7:8], off
	v_add_co_u32 v9, s0, s1, v9
	v_add_co_ci_u32_e64 v10, s0, s2, v10, s0
	v_add_co_u32 v20, s0, s1, v20
	v_add_co_ci_u32_e64 v21, s0, s2, v21, s0
	s_clause 0x1
	global_load_dwordx2 v[9:10], v[9:10], off
	global_load_dwordx2 v[20:21], v[20:21], off
	ds_write2_b32 v36, v5, v6 offset1:1
	ds_write_b64 v4, v[0:1] offset:12960
	ds_read_b64 v[0:1], v39
	ds_read_b64 v[5:6], v4 offset:11664
	s_waitcnt lgkmcnt(0)
	v_sub_f32_e32 v11, v0, v5
	v_add_f32_e32 v15, v1, v6
	v_sub_f32_e32 v1, v1, v6
	v_add_f32_e32 v0, v0, v5
	v_mul_f32_e32 v6, 0.5, v11
	v_mul_f32_e32 v11, 0.5, v15
	v_mul_f32_e32 v1, 0.5, v1
	s_waitcnt vmcnt(3)
	v_mul_f32_e32 v5, v3, v6
	v_fma_f32 v15, v11, v3, v1
	v_fma_f32 v1, v11, v3, -v1
	v_fma_f32 v3, 0.5, v0, v5
	v_fma_f32 v0, v0, 0.5, -v5
	v_fma_f32 v5, -v2, v6, v15
	v_fma_f32 v1, -v2, v6, v1
	v_fmac_f32_e32 v3, v2, v11
	v_fma_f32 v0, -v2, v11, v0
	ds_write2_b32 v39, v3, v5 offset1:1
	ds_write_b64 v4, v[0:1] offset:11664
	ds_read_b64 v[0:1], v38
	ds_read_b64 v[2:3], v4 offset:10368
	s_waitcnt lgkmcnt(0)
	v_sub_f32_e32 v5, v0, v2
	v_add_f32_e32 v6, v1, v3
	v_sub_f32_e32 v1, v1, v3
	v_add_f32_e32 v0, v0, v2
	v_mul_f32_e32 v3, 0.5, v5
	v_mul_f32_e32 v5, 0.5, v6
	v_mul_f32_e32 v1, 0.5, v1
	s_waitcnt vmcnt(2)
	v_mul_f32_e32 v2, v8, v3
	v_fma_f32 v6, v5, v8, v1
	v_fma_f32 v1, v5, v8, -v1
	v_fma_f32 v8, 0.5, v0, v2
	v_fma_f32 v0, v0, 0.5, -v2
	v_fma_f32 v2, -v7, v3, v6
	v_fma_f32 v1, -v7, v3, v1
	v_fmac_f32_e32 v8, v7, v5
	v_fma_f32 v0, -v7, v5, v0
	;; [unrolled: 22-line block ×3, first 2 shown]
	ds_write2_b32 v37, v7, v2 offset1:1
	ds_write_b64 v4, v[0:1] offset:9072
	ds_read_b64 v[0:1], v36 offset:5184
	ds_read_b64 v[2:3], v4 offset:7776
	s_waitcnt lgkmcnt(0)
	v_sub_f32_e32 v5, v0, v2
	v_add_f32_e32 v6, v1, v3
	v_sub_f32_e32 v1, v1, v3
	v_add_f32_e32 v0, v0, v2
	v_mul_f32_e32 v3, 0.5, v5
	v_mul_f32_e32 v5, 0.5, v6
	;; [unrolled: 1-line block ×3, first 2 shown]
	s_waitcnt vmcnt(0)
	v_mul_f32_e32 v2, v21, v3
	v_fma_f32 v6, v5, v21, v1
	v_fma_f32 v1, v5, v21, -v1
	v_fma_f32 v7, 0.5, v0, v2
	v_fma_f32 v0, v0, 0.5, -v2
	v_add_nc_u32_e32 v2, 0x1400, v36
	v_fma_f32 v6, -v20, v3, v6
	v_fma_f32 v1, -v20, v3, v1
	v_fmac_f32_e32 v7, v20, v5
	v_fma_f32 v0, -v20, v5, v0
	ds_write2_b32 v2, v7, v6 offset0:16 offset1:17
	ds_write_b64 v4, v[0:1] offset:7776
	s_waitcnt lgkmcnt(0)
	s_barrier
	buffer_gl0_inv
	s_and_saveexec_b32 s0, vcc_lo
	s_cbranch_execz .LBB0_36
; %bb.34:
	v_mul_lo_u32 v2, s5, v16
	v_mul_lo_u32 v3, s4, v17
	v_mad_u64_u32 v[0:1], null, s4, v16, 0
	v_mov_b32_e32 v15, v19
	v_add_nc_u32_e32 v18, 0xa2, v14
	v_lshlrev_b64 v[10:11], 3, v[12:13]
	v_lshl_add_u32 v17, v14, 3, 0
	v_lshlrev_b64 v[12:13], 3, v[14:15]
	v_add3_u32 v1, v1, v3, v2
	v_lshlrev_b64 v[15:16], 3, v[18:19]
	v_add_nc_u32_e32 v18, 0x144, v14
	v_add_nc_u32_e32 v6, 0x800, v17
	ds_read2_b64 v[2:5], v17 offset1:162
	v_lshlrev_b64 v[0:1], 3, v[0:1]
	v_lshlrev_b64 v[20:21], 3, v[18:19]
	v_add_nc_u32_e32 v18, 0x1e6, v14
	ds_read2_b64 v[6:9], v6 offset0:68 offset1:230
	v_add_co_u32 v0, vcc_lo, s10, v0
	v_add_co_ci_u32_e32 v1, vcc_lo, s11, v1, vcc_lo
	v_add_co_u32 v0, vcc_lo, v0, v10
	v_add_co_ci_u32_e32 v1, vcc_lo, v1, v11, vcc_lo
	v_lshlrev_b64 v[10:11], 3, v[18:19]
	v_add_co_u32 v22, vcc_lo, v0, v12
	v_add_co_ci_u32_e32 v23, vcc_lo, v1, v13, vcc_lo
	v_add_co_u32 v15, vcc_lo, v0, v15
	v_add_co_ci_u32_e32 v16, vcc_lo, v1, v16, vcc_lo
	v_add_co_u32 v20, vcc_lo, v0, v20
	v_add_nc_u32_e32 v12, 0x1400, v17
	v_add_co_ci_u32_e32 v21, vcc_lo, v1, v21, vcc_lo
	v_add_co_u32 v24, vcc_lo, v0, v10
	v_add_nc_u32_e32 v18, 0x288, v14
	v_add_co_ci_u32_e32 v25, vcc_lo, v1, v11, vcc_lo
	ds_read2_b64 v[10:13], v12 offset0:8 offset1:170
	s_waitcnt lgkmcnt(2)
	global_store_dwordx2 v[22:23], v[2:3], off
	global_store_dwordx2 v[15:16], v[4:5], off
	s_waitcnt lgkmcnt(1)
	global_store_dwordx2 v[20:21], v[6:7], off
	global_store_dwordx2 v[24:25], v[8:9], off
	v_lshlrev_b64 v[26:27], 3, v[18:19]
	v_add_nc_u32_e32 v18, 0x32a, v14
	v_add_nc_u32_e32 v6, 0x1c00, v17
	;; [unrolled: 1-line block ×3, first 2 shown]
	v_lshlrev_b64 v[2:3], 3, v[18:19]
	v_add_nc_u32_e32 v18, 0x3cc, v14
	v_add_co_u32 v4, vcc_lo, v0, v26
	v_add_co_ci_u32_e32 v5, vcc_lo, v1, v27, vcc_lo
	v_lshlrev_b64 v[15:16], 3, v[18:19]
	v_add_nc_u32_e32 v18, 0x46e, v14
	v_add_co_u32 v2, vcc_lo, v0, v2
	v_add_co_ci_u32_e32 v3, vcc_lo, v1, v3, vcc_lo
	s_waitcnt lgkmcnt(0)
	global_store_dwordx2 v[4:5], v[10:11], off
	v_lshlrev_b64 v[10:11], 3, v[18:19]
	v_add_nc_u32_e32 v18, 0x510, v14
	global_store_dwordx2 v[2:3], v[12:13], off
	v_add_co_u32 v12, vcc_lo, v0, v15
	ds_read2_b64 v[2:5], v6 offset0:76 offset1:238
	v_add_co_ci_u32_e32 v13, vcc_lo, v1, v16, vcc_lo
	v_lshlrev_b64 v[15:16], 3, v[18:19]
	v_add_nc_u32_e32 v18, 0x5b2, v14
	ds_read2_b64 v[6:9], v7 offset0:16 offset1:178
	v_add_co_u32 v10, vcc_lo, v0, v10
	v_add_co_ci_u32_e32 v11, vcc_lo, v1, v11, vcc_lo
	v_lshlrev_b64 v[17:18], 3, v[18:19]
	v_add_co_u32 v15, vcc_lo, v0, v15
	v_add_co_ci_u32_e32 v16, vcc_lo, v1, v16, vcc_lo
	v_add_co_u32 v17, vcc_lo, v0, v17
	v_add_co_ci_u32_e32 v18, vcc_lo, v1, v18, vcc_lo
	v_cmp_eq_u32_e32 vcc_lo, 0xa1, v14
	s_waitcnt lgkmcnt(1)
	global_store_dwordx2 v[12:13], v[2:3], off
	global_store_dwordx2 v[10:11], v[4:5], off
	s_waitcnt lgkmcnt(0)
	global_store_dwordx2 v[15:16], v[6:7], off
	global_store_dwordx2 v[17:18], v[8:9], off
	s_and_b32 exec_lo, exec_lo, vcc_lo
	s_cbranch_execz .LBB0_36
; %bb.35:
	v_mov_b32_e32 v2, 0
	v_add_co_u32 v0, vcc_lo, 0x3000, v0
	v_add_co_ci_u32_e32 v1, vcc_lo, 0, v1, vcc_lo
	ds_read_b64 v[2:3], v2 offset:12960
	s_waitcnt lgkmcnt(0)
	global_store_dwordx2 v[0:1], v[2:3], off offset:672
.LBB0_36:
	s_endpgm
	.section	.rodata,"a",@progbits
	.p2align	6, 0x0
	.amdhsa_kernel fft_rtc_back_len1620_factors_10_3_3_6_3_wgs_162_tpt_162_halfLds_sp_op_CI_CI_unitstride_sbrr_R2C_dirReg
		.amdhsa_group_segment_fixed_size 0
		.amdhsa_private_segment_fixed_size 0
		.amdhsa_kernarg_size 104
		.amdhsa_user_sgpr_count 6
		.amdhsa_user_sgpr_private_segment_buffer 1
		.amdhsa_user_sgpr_dispatch_ptr 0
		.amdhsa_user_sgpr_queue_ptr 0
		.amdhsa_user_sgpr_kernarg_segment_ptr 1
		.amdhsa_user_sgpr_dispatch_id 0
		.amdhsa_user_sgpr_flat_scratch_init 0
		.amdhsa_user_sgpr_private_segment_size 0
		.amdhsa_wavefront_size32 1
		.amdhsa_uses_dynamic_stack 0
		.amdhsa_system_sgpr_private_segment_wavefront_offset 0
		.amdhsa_system_sgpr_workgroup_id_x 1
		.amdhsa_system_sgpr_workgroup_id_y 0
		.amdhsa_system_sgpr_workgroup_id_z 0
		.amdhsa_system_sgpr_workgroup_info 0
		.amdhsa_system_vgpr_workitem_id 0
		.amdhsa_next_free_vgpr 65
		.amdhsa_next_free_sgpr 27
		.amdhsa_reserve_vcc 1
		.amdhsa_reserve_flat_scratch 0
		.amdhsa_float_round_mode_32 0
		.amdhsa_float_round_mode_16_64 0
		.amdhsa_float_denorm_mode_32 3
		.amdhsa_float_denorm_mode_16_64 3
		.amdhsa_dx10_clamp 1
		.amdhsa_ieee_mode 1
		.amdhsa_fp16_overflow 0
		.amdhsa_workgroup_processor_mode 1
		.amdhsa_memory_ordered 1
		.amdhsa_forward_progress 0
		.amdhsa_shared_vgpr_count 0
		.amdhsa_exception_fp_ieee_invalid_op 0
		.amdhsa_exception_fp_denorm_src 0
		.amdhsa_exception_fp_ieee_div_zero 0
		.amdhsa_exception_fp_ieee_overflow 0
		.amdhsa_exception_fp_ieee_underflow 0
		.amdhsa_exception_fp_ieee_inexact 0
		.amdhsa_exception_int_div_zero 0
	.end_amdhsa_kernel
	.text
.Lfunc_end0:
	.size	fft_rtc_back_len1620_factors_10_3_3_6_3_wgs_162_tpt_162_halfLds_sp_op_CI_CI_unitstride_sbrr_R2C_dirReg, .Lfunc_end0-fft_rtc_back_len1620_factors_10_3_3_6_3_wgs_162_tpt_162_halfLds_sp_op_CI_CI_unitstride_sbrr_R2C_dirReg
                                        ; -- End function
	.section	.AMDGPU.csdata,"",@progbits
; Kernel info:
; codeLenInByte = 8448
; NumSgprs: 29
; NumVgprs: 65
; ScratchSize: 0
; MemoryBound: 0
; FloatMode: 240
; IeeeMode: 1
; LDSByteSize: 0 bytes/workgroup (compile time only)
; SGPRBlocks: 3
; VGPRBlocks: 8
; NumSGPRsForWavesPerEU: 29
; NumVGPRsForWavesPerEU: 65
; Occupancy: 12
; WaveLimiterHint : 1
; COMPUTE_PGM_RSRC2:SCRATCH_EN: 0
; COMPUTE_PGM_RSRC2:USER_SGPR: 6
; COMPUTE_PGM_RSRC2:TRAP_HANDLER: 0
; COMPUTE_PGM_RSRC2:TGID_X_EN: 1
; COMPUTE_PGM_RSRC2:TGID_Y_EN: 0
; COMPUTE_PGM_RSRC2:TGID_Z_EN: 0
; COMPUTE_PGM_RSRC2:TIDIG_COMP_CNT: 0
	.text
	.p2alignl 6, 3214868480
	.fill 48, 4, 3214868480
	.type	__hip_cuid_e2dc8b5aa7828eef,@object ; @__hip_cuid_e2dc8b5aa7828eef
	.section	.bss,"aw",@nobits
	.globl	__hip_cuid_e2dc8b5aa7828eef
__hip_cuid_e2dc8b5aa7828eef:
	.byte	0                               ; 0x0
	.size	__hip_cuid_e2dc8b5aa7828eef, 1

	.ident	"AMD clang version 19.0.0git (https://github.com/RadeonOpenCompute/llvm-project roc-6.4.0 25133 c7fe45cf4b819c5991fe208aaa96edf142730f1d)"
	.section	".note.GNU-stack","",@progbits
	.addrsig
	.addrsig_sym __hip_cuid_e2dc8b5aa7828eef
	.amdgpu_metadata
---
amdhsa.kernels:
  - .args:
      - .actual_access:  read_only
        .address_space:  global
        .offset:         0
        .size:           8
        .value_kind:     global_buffer
      - .offset:         8
        .size:           8
        .value_kind:     by_value
      - .actual_access:  read_only
        .address_space:  global
        .offset:         16
        .size:           8
        .value_kind:     global_buffer
      - .actual_access:  read_only
        .address_space:  global
        .offset:         24
        .size:           8
        .value_kind:     global_buffer
      - .actual_access:  read_only
        .address_space:  global
        .offset:         32
        .size:           8
        .value_kind:     global_buffer
      - .offset:         40
        .size:           8
        .value_kind:     by_value
      - .actual_access:  read_only
        .address_space:  global
        .offset:         48
        .size:           8
        .value_kind:     global_buffer
      - .actual_access:  read_only
        .address_space:  global
        .offset:         56
        .size:           8
        .value_kind:     global_buffer
      - .offset:         64
        .size:           4
        .value_kind:     by_value
      - .actual_access:  read_only
        .address_space:  global
        .offset:         72
        .size:           8
        .value_kind:     global_buffer
      - .actual_access:  read_only
        .address_space:  global
        .offset:         80
        .size:           8
        .value_kind:     global_buffer
      - .actual_access:  read_only
        .address_space:  global
        .offset:         88
        .size:           8
        .value_kind:     global_buffer
      - .actual_access:  write_only
        .address_space:  global
        .offset:         96
        .size:           8
        .value_kind:     global_buffer
    .group_segment_fixed_size: 0
    .kernarg_segment_align: 8
    .kernarg_segment_size: 104
    .language:       OpenCL C
    .language_version:
      - 2
      - 0
    .max_flat_workgroup_size: 162
    .name:           fft_rtc_back_len1620_factors_10_3_3_6_3_wgs_162_tpt_162_halfLds_sp_op_CI_CI_unitstride_sbrr_R2C_dirReg
    .private_segment_fixed_size: 0
    .sgpr_count:     29
    .sgpr_spill_count: 0
    .symbol:         fft_rtc_back_len1620_factors_10_3_3_6_3_wgs_162_tpt_162_halfLds_sp_op_CI_CI_unitstride_sbrr_R2C_dirReg.kd
    .uniform_work_group_size: 1
    .uses_dynamic_stack: false
    .vgpr_count:     65
    .vgpr_spill_count: 0
    .wavefront_size: 32
    .workgroup_processor_mode: 1
amdhsa.target:   amdgcn-amd-amdhsa--gfx1030
amdhsa.version:
  - 1
  - 2
...

	.end_amdgpu_metadata
